;; amdgpu-corpus repo=ROCm/rocFFT kind=compiled arch=gfx906 opt=O3
	.text
	.amdgcn_target "amdgcn-amd-amdhsa--gfx906"
	.amdhsa_code_object_version 6
	.protected	fft_rtc_back_len35_factors_5_7_wgs_252_tpt_7_dp_ip_CI_unitstride_sbrr_dirReg ; -- Begin function fft_rtc_back_len35_factors_5_7_wgs_252_tpt_7_dp_ip_CI_unitstride_sbrr_dirReg
	.globl	fft_rtc_back_len35_factors_5_7_wgs_252_tpt_7_dp_ip_CI_unitstride_sbrr_dirReg
	.p2align	8
	.type	fft_rtc_back_len35_factors_5_7_wgs_252_tpt_7_dp_ip_CI_unitstride_sbrr_dirReg,@function
fft_rtc_back_len35_factors_5_7_wgs_252_tpt_7_dp_ip_CI_unitstride_sbrr_dirReg: ; @fft_rtc_back_len35_factors_5_7_wgs_252_tpt_7_dp_ip_CI_unitstride_sbrr_dirReg
; %bb.0:
	v_mul_u32_u24_e32 v1, 0x2493, v0
	s_load_dwordx2 s[2:3], s[4:5], 0x50
	s_load_dwordx4 s[8:11], s[4:5], 0x0
	s_load_dwordx2 s[12:13], s[4:5], 0x18
	v_lshrrev_b32_e32 v1, 16, v1
	v_mad_u64_u32 v[20:21], s[0:1], s6, 36, v[1:2]
	v_mov_b32_e32 v3, 0
	s_waitcnt lgkmcnt(0)
	v_cmp_lt_u64_e64 s[0:1], s[10:11], 2
	v_mov_b32_e32 v21, v3
	v_mov_b32_e32 v1, 0
	;; [unrolled: 1-line block ×3, first 2 shown]
	s_and_b64 vcc, exec, s[0:1]
	v_mov_b32_e32 v2, 0
	v_mov_b32_e32 v8, v21
	s_cbranch_vccnz .LBB0_8
; %bb.1:
	s_load_dwordx2 s[0:1], s[4:5], 0x10
	s_add_u32 s6, s12, 8
	s_addc_u32 s7, s13, 0
	v_mov_b32_e32 v1, 0
	v_mov_b32_e32 v5, v20
	s_waitcnt lgkmcnt(0)
	s_add_u32 s16, s0, 8
	s_mov_b64 s[14:15], 1
	v_mov_b32_e32 v2, 0
	s_addc_u32 s17, s1, 0
	v_mov_b32_e32 v6, v21
.LBB0_2:                                ; =>This Inner Loop Header: Depth=1
	s_load_dwordx2 s[18:19], s[16:17], 0x0
                                        ; implicit-def: $vgpr7_vgpr8
	s_waitcnt lgkmcnt(0)
	v_or_b32_e32 v4, s19, v6
	v_cmp_ne_u64_e32 vcc, 0, v[3:4]
	s_and_saveexec_b64 s[0:1], vcc
	s_xor_b64 s[20:21], exec, s[0:1]
	s_cbranch_execz .LBB0_4
; %bb.3:                                ;   in Loop: Header=BB0_2 Depth=1
	v_cvt_f32_u32_e32 v4, s18
	v_cvt_f32_u32_e32 v7, s19
	s_sub_u32 s0, 0, s18
	s_subb_u32 s1, 0, s19
	v_mac_f32_e32 v4, 0x4f800000, v7
	v_rcp_f32_e32 v4, v4
	v_mul_f32_e32 v4, 0x5f7ffffc, v4
	v_mul_f32_e32 v7, 0x2f800000, v4
	v_trunc_f32_e32 v7, v7
	v_mac_f32_e32 v4, 0xcf800000, v7
	v_cvt_u32_f32_e32 v7, v7
	v_cvt_u32_f32_e32 v4, v4
	v_mul_lo_u32 v8, s0, v7
	v_mul_hi_u32 v9, s0, v4
	v_mul_lo_u32 v11, s1, v4
	v_mul_lo_u32 v10, s0, v4
	v_add_u32_e32 v8, v9, v8
	v_add_u32_e32 v8, v8, v11
	v_mul_hi_u32 v9, v4, v10
	v_mul_lo_u32 v11, v4, v8
	v_mul_hi_u32 v13, v4, v8
	v_mul_hi_u32 v12, v7, v10
	v_mul_lo_u32 v10, v7, v10
	v_mul_hi_u32 v14, v7, v8
	v_add_co_u32_e32 v9, vcc, v9, v11
	v_addc_co_u32_e32 v11, vcc, 0, v13, vcc
	v_mul_lo_u32 v8, v7, v8
	v_add_co_u32_e32 v9, vcc, v9, v10
	v_addc_co_u32_e32 v9, vcc, v11, v12, vcc
	v_addc_co_u32_e32 v10, vcc, 0, v14, vcc
	v_add_co_u32_e32 v8, vcc, v9, v8
	v_addc_co_u32_e32 v9, vcc, 0, v10, vcc
	v_add_co_u32_e32 v4, vcc, v4, v8
	v_addc_co_u32_e32 v7, vcc, v7, v9, vcc
	v_mul_lo_u32 v8, s0, v7
	v_mul_hi_u32 v9, s0, v4
	v_mul_lo_u32 v10, s1, v4
	v_mul_lo_u32 v11, s0, v4
	v_add_u32_e32 v8, v9, v8
	v_add_u32_e32 v8, v8, v10
	v_mul_lo_u32 v12, v4, v8
	v_mul_hi_u32 v13, v4, v11
	v_mul_hi_u32 v14, v4, v8
	;; [unrolled: 1-line block ×3, first 2 shown]
	v_mul_lo_u32 v11, v7, v11
	v_mul_hi_u32 v9, v7, v8
	v_add_co_u32_e32 v12, vcc, v13, v12
	v_addc_co_u32_e32 v13, vcc, 0, v14, vcc
	v_mul_lo_u32 v8, v7, v8
	v_add_co_u32_e32 v11, vcc, v12, v11
	v_addc_co_u32_e32 v10, vcc, v13, v10, vcc
	v_addc_co_u32_e32 v9, vcc, 0, v9, vcc
	v_add_co_u32_e32 v8, vcc, v10, v8
	v_addc_co_u32_e32 v9, vcc, 0, v9, vcc
	v_add_co_u32_e32 v4, vcc, v4, v8
	v_addc_co_u32_e32 v9, vcc, v7, v9, vcc
	v_mad_u64_u32 v[7:8], s[0:1], v5, v9, 0
	v_mul_hi_u32 v10, v5, v4
	v_add_co_u32_e32 v11, vcc, v10, v7
	v_addc_co_u32_e32 v12, vcc, 0, v8, vcc
	v_mad_u64_u32 v[7:8], s[0:1], v6, v4, 0
	v_mad_u64_u32 v[9:10], s[0:1], v6, v9, 0
	v_add_co_u32_e32 v4, vcc, v11, v7
	v_addc_co_u32_e32 v4, vcc, v12, v8, vcc
	v_addc_co_u32_e32 v7, vcc, 0, v10, vcc
	v_add_co_u32_e32 v4, vcc, v4, v9
	v_addc_co_u32_e32 v9, vcc, 0, v7, vcc
	v_mul_lo_u32 v10, s19, v4
	v_mul_lo_u32 v11, s18, v9
	v_mad_u64_u32 v[7:8], s[0:1], s18, v4, 0
	v_add3_u32 v8, v8, v11, v10
	v_sub_u32_e32 v10, v6, v8
	v_mov_b32_e32 v11, s19
	v_sub_co_u32_e32 v7, vcc, v5, v7
	v_subb_co_u32_e64 v10, s[0:1], v10, v11, vcc
	v_subrev_co_u32_e64 v11, s[0:1], s18, v7
	v_subbrev_co_u32_e64 v10, s[0:1], 0, v10, s[0:1]
	v_cmp_le_u32_e64 s[0:1], s19, v10
	v_cndmask_b32_e64 v12, 0, -1, s[0:1]
	v_cmp_le_u32_e64 s[0:1], s18, v11
	v_cndmask_b32_e64 v11, 0, -1, s[0:1]
	v_cmp_eq_u32_e64 s[0:1], s19, v10
	v_cndmask_b32_e64 v10, v12, v11, s[0:1]
	v_add_co_u32_e64 v11, s[0:1], 2, v4
	v_addc_co_u32_e64 v12, s[0:1], 0, v9, s[0:1]
	v_add_co_u32_e64 v13, s[0:1], 1, v4
	v_addc_co_u32_e64 v14, s[0:1], 0, v9, s[0:1]
	v_subb_co_u32_e32 v8, vcc, v6, v8, vcc
	v_cmp_ne_u32_e64 s[0:1], 0, v10
	v_cmp_le_u32_e32 vcc, s19, v8
	v_cndmask_b32_e64 v10, v14, v12, s[0:1]
	v_cndmask_b32_e64 v12, 0, -1, vcc
	v_cmp_le_u32_e32 vcc, s18, v7
	v_cndmask_b32_e64 v7, 0, -1, vcc
	v_cmp_eq_u32_e32 vcc, s19, v8
	v_cndmask_b32_e32 v7, v12, v7, vcc
	v_cmp_ne_u32_e32 vcc, 0, v7
	v_cndmask_b32_e64 v7, v13, v11, s[0:1]
	v_cndmask_b32_e32 v8, v9, v10, vcc
	v_cndmask_b32_e32 v7, v4, v7, vcc
.LBB0_4:                                ;   in Loop: Header=BB0_2 Depth=1
	s_andn2_saveexec_b64 s[0:1], s[20:21]
	s_cbranch_execz .LBB0_6
; %bb.5:                                ;   in Loop: Header=BB0_2 Depth=1
	v_cvt_f32_u32_e32 v4, s18
	s_sub_i32 s20, 0, s18
	v_rcp_iflag_f32_e32 v4, v4
	v_mul_f32_e32 v4, 0x4f7ffffe, v4
	v_cvt_u32_f32_e32 v4, v4
	v_mul_lo_u32 v7, s20, v4
	v_mul_hi_u32 v7, v4, v7
	v_add_u32_e32 v4, v4, v7
	v_mul_hi_u32 v4, v5, v4
	v_mul_lo_u32 v7, v4, s18
	v_add_u32_e32 v8, 1, v4
	v_sub_u32_e32 v7, v5, v7
	v_subrev_u32_e32 v9, s18, v7
	v_cmp_le_u32_e32 vcc, s18, v7
	v_cndmask_b32_e32 v7, v7, v9, vcc
	v_cndmask_b32_e32 v4, v4, v8, vcc
	v_add_u32_e32 v8, 1, v4
	v_cmp_le_u32_e32 vcc, s18, v7
	v_cndmask_b32_e32 v7, v4, v8, vcc
	v_mov_b32_e32 v8, v3
.LBB0_6:                                ;   in Loop: Header=BB0_2 Depth=1
	s_or_b64 exec, exec, s[0:1]
	v_mul_lo_u32 v4, v8, s18
	v_mul_lo_u32 v11, v7, s19
	v_mad_u64_u32 v[9:10], s[0:1], v7, s18, 0
	s_load_dwordx2 s[0:1], s[6:7], 0x0
	s_add_u32 s14, s14, 1
	v_add3_u32 v4, v10, v11, v4
	v_sub_co_u32_e32 v5, vcc, v5, v9
	v_subb_co_u32_e32 v4, vcc, v6, v4, vcc
	s_waitcnt lgkmcnt(0)
	v_mul_lo_u32 v4, s0, v4
	v_mul_lo_u32 v6, s1, v5
	v_mad_u64_u32 v[1:2], s[0:1], s0, v5, v[1:2]
	s_addc_u32 s15, s15, 0
	s_add_u32 s6, s6, 8
	v_add3_u32 v2, v6, v2, v4
	v_mov_b32_e32 v4, s10
	v_mov_b32_e32 v5, s11
	s_addc_u32 s7, s7, 0
	v_cmp_ge_u64_e32 vcc, s[14:15], v[4:5]
	s_add_u32 s16, s16, 8
	s_addc_u32 s17, s17, 0
	s_cbranch_vccnz .LBB0_8
; %bb.7:                                ;   in Loop: Header=BB0_2 Depth=1
	v_mov_b32_e32 v5, v7
	v_mov_b32_e32 v6, v8
	s_branch .LBB0_2
.LBB0_8:
	s_lshl_b64 s[0:1], s[10:11], 3
	s_add_u32 s0, s12, s0
	s_addc_u32 s1, s13, s1
	s_load_dwordx2 s[6:7], s[0:1], 0x0
	s_load_dwordx2 s[10:11], s[4:5], 0x20
                                        ; implicit-def: $vgpr18_vgpr19
                                        ; implicit-def: $vgpr10_vgpr11
                                        ; implicit-def: $vgpr14_vgpr15
	s_waitcnt lgkmcnt(0)
	v_mad_u64_u32 v[1:2], s[0:1], s6, v7, v[1:2]
	v_mul_lo_u32 v3, s6, v8
	v_mul_lo_u32 v4, s7, v7
	s_mov_b32 s0, 0x24924925
	v_mul_hi_u32 v5, v0, s0
	v_cmp_gt_u64_e32 vcc, s[10:11], v[7:8]
	v_add3_u32 v2, v4, v2, v3
	v_lshlrev_b64 v[30:31], 4, v[1:2]
	v_mul_u32_u24_e32 v3, 7, v5
	v_sub_u32_e32 v28, v0, v3
                                        ; implicit-def: $vgpr2_vgpr3
                                        ; implicit-def: $vgpr6_vgpr7
	s_and_saveexec_b64 s[4:5], vcc
	s_cbranch_execz .LBB0_10
; %bb.9:
	v_mov_b32_e32 v29, 0
	v_mov_b32_e32 v0, s3
	v_add_co_u32_e64 v2, s[0:1], s2, v30
	v_addc_co_u32_e64 v3, s[0:1], v0, v31, s[0:1]
	v_lshlrev_b64 v[0:1], 4, v[28:29]
	v_add_co_u32_e64 v21, s[0:1], v2, v0
	v_addc_co_u32_e64 v22, s[0:1], v3, v1, s[0:1]
	global_load_dwordx4 v[4:7], v[21:22], off
	global_load_dwordx4 v[0:3], v[21:22], off offset:112
	global_load_dwordx4 v[12:15], v[21:22], off offset:224
	;; [unrolled: 1-line block ×4, first 2 shown]
.LBB0_10:
	s_or_b64 exec, exec, s[4:5]
	s_waitcnt vmcnt(3)
	v_add_f64 v[21:22], v[0:1], v[4:5]
	v_add_f64 v[23:24], v[2:3], v[6:7]
	s_waitcnt vmcnt(1)
	v_add_f64 v[25:26], v[8:9], v[12:13]
	v_add_f64 v[34:35], v[0:1], -v[12:13]
	v_add_f64 v[36:37], v[12:13], -v[0:1]
	v_add_f64 v[38:39], v[10:11], v[14:15]
	s_waitcnt vmcnt(0)
	v_add_f64 v[44:45], v[16:17], v[0:1]
	v_add_f64 v[46:47], v[0:1], -v[16:17]
	v_add_f64 v[21:22], v[12:13], v[21:22]
	v_add_f64 v[23:24], v[14:15], v[23:24]
	v_add_f64 v[32:33], v[14:15], -v[10:11]
	v_add_f64 v[12:13], v[12:13], -v[8:9]
	;; [unrolled: 1-line block ×6, first 2 shown]
	v_add_f64 v[0:1], v[8:9], v[21:22]
	v_add_f64 v[21:22], v[10:11], v[23:24]
	;; [unrolled: 1-line block ×3, first 2 shown]
	v_add_f64 v[8:9], v[8:9], -v[16:17]
	v_add_f64 v[50:51], v[18:19], -v[10:11]
	;; [unrolled: 1-line block ×3, first 2 shown]
	v_fma_f64 v[25:26], v[25:26], -0.5, v[4:5]
	s_mov_b32 s0, 0x134454ff
	v_add_f64 v[0:1], v[16:17], v[0:1]
	v_add_f64 v[2:3], v[18:19], v[21:22]
	v_fma_f64 v[16:17], v[38:39], -0.5, v[6:7]
	v_fma_f64 v[18:19], v[44:45], -0.5, v[4:5]
	v_fma_f64 v[21:22], v[23:24], -0.5, v[6:7]
	s_mov_b32 s1, 0xbfee6f0e
	s_mov_b32 s5, 0x3fee6f0e
	;; [unrolled: 1-line block ×3, first 2 shown]
	v_fma_f64 v[4:5], v[42:43], s[0:1], v[25:26]
	v_add_f64 v[23:24], v[48:49], v[34:35]
	v_fma_f64 v[6:7], v[46:47], s[4:5], v[16:17]
	v_add_f64 v[34:35], v[50:51], v[40:41]
	v_fma_f64 v[25:26], v[42:43], s[4:5], v[25:26]
	v_fma_f64 v[16:17], v[46:47], s[0:1], v[16:17]
	;; [unrolled: 1-line block ×6, first 2 shown]
	s_mov_b32 s6, 0x4755a5e
	s_mov_b32 s7, 0xbfe2cf23
	;; [unrolled: 1-line block ×4, first 2 shown]
	v_fma_f64 v[4:5], v[32:33], s[6:7], v[4:5]
	v_fma_f64 v[6:7], v[12:13], s[10:11], v[6:7]
	;; [unrolled: 1-line block ×4, first 2 shown]
	v_add_f64 v[32:33], v[8:9], v[36:37]
	v_fma_f64 v[8:9], v[42:43], s[6:7], v[38:39]
	v_fma_f64 v[18:19], v[42:43], s[10:11], v[18:19]
	v_add_f64 v[36:37], v[10:11], v[14:15]
	v_fma_f64 v[10:11], v[46:47], s[10:11], v[40:41]
	v_fma_f64 v[21:22], v[46:47], s[6:7], v[21:22]
	s_mov_b32 s0, 0x38e38e39
	v_mul_hi_u32 v27, v20, s0
	s_mov_b32 s12, 0x372fe950
	s_mov_b32 s13, 0x3fd3c6ef
	v_fma_f64 v[4:5], v[23:24], s[12:13], v[4:5]
	v_fma_f64 v[6:7], v[34:35], s[12:13], v[6:7]
	;; [unrolled: 1-line block ×5, first 2 shown]
	v_lshrrev_b32_e32 v16, 3, v27
	v_fma_f64 v[10:11], v[36:37], s[12:13], v[10:11]
	v_fma_f64 v[24:25], v[32:33], s[12:13], v[18:19]
	;; [unrolled: 1-line block ×3, first 2 shown]
	v_mul_lo_u32 v16, v16, 36
	s_movk_i32 s0, 0x50
                                        ; implicit-def: $vgpr22_vgpr23
	v_sub_u32_e32 v16, v20, v16
	v_mul_u32_u24_e32 v17, 35, v16
	v_mad_u32_u24 v16, v28, s0, 0
	v_lshl_add_u32 v18, v17, 4, v16
	v_cmp_gt_u32_e64 s[0:1], 5, v28
	ds_write_b128 v18, v[0:3]
	ds_write_b128 v18, v[4:7] offset:16
	ds_write_b128 v18, v[8:11] offset:32
	;; [unrolled: 1-line block ×4, first 2 shown]
	s_waitcnt lgkmcnt(0)
	s_barrier
	s_waitcnt lgkmcnt(0)
                                        ; implicit-def: $vgpr18_vgpr19
	s_and_saveexec_b64 s[4:5], s[0:1]
	s_cbranch_execnz .LBB0_13
; %bb.11:
	s_or_b64 exec, exec, s[4:5]
	s_and_b64 s[0:1], vcc, s[0:1]
	s_and_saveexec_b64 s[4:5], s[0:1]
	s_cbranch_execnz .LBB0_14
.LBB0_12:
	s_endpgm
.LBB0_13:
	v_lshlrev_b32_e32 v2, 6, v28
	v_lshlrev_b32_e32 v0, 4, v17
	;; [unrolled: 1-line block ×3, first 2 shown]
	v_sub_u32_e32 v2, v16, v2
	v_add3_u32 v1, 0, v0, v1
	v_add_u32_e32 v20, v2, v0
	ds_read_b128 v[0:3], v1
	ds_read_b128 v[4:7], v20 offset:80
	ds_read_b128 v[8:11], v20 offset:160
	;; [unrolled: 1-line block ×6, first 2 shown]
	s_or_b64 exec, exec, s[4:5]
	s_and_b64 s[0:1], vcc, s[0:1]
	s_and_saveexec_b64 s[4:5], s[0:1]
	s_cbranch_execz .LBB0_12
.LBB0_14:
	v_mul_u32_u24_e32 v29, 6, v28
	v_lshlrev_b32_e32 v29, 4, v29
	global_load_dwordx4 v[32:35], v29, s[8:9] offset:32
	global_load_dwordx4 v[36:39], v29, s[8:9] offset:48
	;; [unrolled: 1-line block ×4, first 2 shown]
	global_load_dwordx4 v[48:51], v29, s[8:9]
	global_load_dwordx4 v[52:55], v29, s[8:9] offset:80
	s_mov_b32 s6, 0xe976ee23
	s_mov_b32 s12, 0x37e14327
	;; [unrolled: 1-line block ×16, first 2 shown]
	v_mov_b32_e32 v29, 0
	v_add_co_u32_e32 v30, vcc, s2, v30
	v_lshlrev_b64 v[28:29], 4, v[28:29]
	s_waitcnt vmcnt(5) lgkmcnt(3)
	v_mul_f64 v[56:57], v[26:27], v[34:35]
	v_mul_f64 v[34:35], v[24:25], v[34:35]
	v_fma_f64 v[24:25], v[24:25], v[32:33], v[56:57]
	v_fma_f64 v[26:27], v[26:27], v[32:33], -v[34:35]
	s_waitcnt vmcnt(4) lgkmcnt(2)
	v_mul_f64 v[32:33], v[14:15], v[38:39]
	v_mul_f64 v[34:35], v[12:13], v[38:39]
	s_waitcnt vmcnt(3)
	v_mul_f64 v[38:39], v[10:11], v[42:43]
	v_mul_f64 v[42:43], v[8:9], v[42:43]
	v_fma_f64 v[12:13], v[12:13], v[36:37], v[32:33]
	v_fma_f64 v[14:15], v[14:15], v[36:37], -v[34:35]
	s_waitcnt vmcnt(2) lgkmcnt(1)
	v_mul_f64 v[32:33], v[18:19], v[46:47]
	s_waitcnt vmcnt(1)
	v_mul_f64 v[34:35], v[6:7], v[50:51]
	s_waitcnt vmcnt(0) lgkmcnt(0)
	v_mul_f64 v[36:37], v[22:23], v[54:55]
	v_mul_f64 v[46:47], v[16:17], v[46:47]
	v_fma_f64 v[8:9], v[8:9], v[40:41], v[38:39]
	v_fma_f64 v[10:11], v[10:11], v[40:41], -v[42:43]
	v_mul_f64 v[38:39], v[4:5], v[50:51]
	v_mul_f64 v[40:41], v[20:21], v[54:55]
	v_fma_f64 v[16:17], v[16:17], v[44:45], v[32:33]
	v_fma_f64 v[4:5], v[4:5], v[48:49], v[34:35]
	;; [unrolled: 1-line block ×3, first 2 shown]
	v_fma_f64 v[18:19], v[18:19], v[44:45], -v[46:47]
	v_add_f64 v[32:33], v[12:13], -v[24:25]
	v_add_f64 v[12:13], v[12:13], v[24:25]
	v_fma_f64 v[6:7], v[6:7], v[48:49], -v[38:39]
	v_fma_f64 v[22:23], v[22:23], v[52:53], -v[40:41]
	v_add_f64 v[34:35], v[8:9], -v[16:17]
	v_add_f64 v[8:9], v[8:9], v[16:17]
	v_add_f64 v[36:37], v[4:5], -v[20:21]
	v_add_f64 v[40:41], v[10:11], v[18:19]
	v_add_f64 v[4:5], v[4:5], v[20:21]
	;; [unrolled: 1-line block ×3, first 2 shown]
	v_add_f64 v[14:15], v[14:15], -v[26:27]
	v_add_f64 v[42:43], v[6:7], v[22:23]
	v_add_f64 v[10:11], v[10:11], -v[18:19]
	v_add_f64 v[6:7], v[6:7], -v[22:23]
	v_add_f64 v[16:17], v[32:33], v[34:35]
	v_add_f64 v[18:19], v[32:33], -v[34:35]
	v_add_f64 v[46:47], v[8:9], v[4:5]
	v_add_f64 v[20:21], v[36:37], -v[32:33]
	v_add_f64 v[32:33], v[12:13], -v[8:9]
	v_add_f64 v[26:27], v[40:41], v[42:43]
	v_add_f64 v[24:25], v[42:43], -v[38:39]
	v_add_f64 v[44:45], v[4:5], -v[12:13]
	;; [unrolled: 1-line block ×4, first 2 shown]
	v_add_f64 v[12:13], v[12:13], v[46:47]
	v_add_f64 v[4:5], v[8:9], -v[4:5]
	v_add_f64 v[8:9], v[10:11], -v[6:7]
	v_add_f64 v[26:27], v[38:39], v[26:27]
	v_add_f64 v[22:23], v[38:39], -v[40:41]
	v_add_f64 v[48:49], v[14:15], v[10:11]
	v_add_f64 v[14:15], v[6:7], -v[14:15]
	v_add_f64 v[40:41], v[40:41], -v[42:43]
	v_add_f64 v[10:11], v[16:17], v[36:37]
	v_mul_f64 v[16:17], v[18:19], s[6:7]
	v_mul_f64 v[24:25], v[24:25], s[12:13]
	;; [unrolled: 1-line block ×4, first 2 shown]
	v_add_f64 v[2:3], v[2:3], v[26:27]
	v_add_f64 v[0:1], v[0:1], v[12:13]
	v_mul_f64 v[44:45], v[34:35], s[14:15]
	v_mul_f64 v[46:47], v[8:9], s[14:15]
	;; [unrolled: 1-line block ×4, first 2 shown]
	v_add_f64 v[6:7], v[48:49], v[6:7]
	v_fma_f64 v[48:49], v[20:21], s[0:1], v[16:17]
	v_fma_f64 v[22:23], v[22:23], s[8:9], v[24:25]
	;; [unrolled: 1-line block ×4, first 2 shown]
	s_mov_b32 s1, 0x3fd5d0dc
	v_fma_f64 v[26:27], v[26:27], s[10:11], v[2:3]
	v_fma_f64 v[12:13], v[12:13], s[10:11], v[0:1]
	v_fma_f64 v[24:25], v[40:41], s[16:17], -v[24:25]
	v_fma_f64 v[38:39], v[4:5], s[16:17], -v[38:39]
	s_mov_b32 s17, 0x3fe77f67
	v_fma_f64 v[20:21], v[20:21], s[0:1], -v[44:45]
	v_fma_f64 v[14:15], v[14:15], s[0:1], -v[46:47]
	;; [unrolled: 1-line block ×6, first 2 shown]
	v_fma_f64 v[34:35], v[10:11], s[4:5], v[48:49]
	v_fma_f64 v[36:37], v[6:7], s[4:5], v[50:51]
	v_add_f64 v[44:45], v[22:23], v[26:27]
	v_add_f64 v[32:33], v[32:33], v[12:13]
	v_fma_f64 v[20:21], v[10:11], s[4:5], v[20:21]
	v_fma_f64 v[42:43], v[6:7], s[4:5], v[14:15]
	v_add_f64 v[22:23], v[24:25], v[26:27]
	v_add_f64 v[38:39], v[38:39], v[12:13]
	;; [unrolled: 4-line block ×3, first 2 shown]
	v_add_f64 v[26:27], v[44:45], -v[34:35]
	v_add_f64 v[24:25], v[36:37], v[32:33]
	v_add_f64 v[10:11], v[20:21], v[22:23]
	v_add_f64 v[22:23], v[22:23], -v[20:21]
	v_add_f64 v[20:21], v[42:43], v[38:39]
	v_mov_b32_e32 v52, s3
	v_add_f64 v[14:15], v[18:19], -v[16:17]
	v_add_f64 v[18:19], v[16:17], v[18:19]
	v_add_f64 v[16:17], v[46:47], -v[40:41]
	v_add_f64 v[12:13], v[40:41], v[46:47]
	v_addc_co_u32_e32 v31, vcc, v52, v31, vcc
	v_add_f64 v[8:9], v[38:39], -v[42:43]
	v_add_f64 v[6:7], v[34:35], v[44:45]
	v_add_f64 v[4:5], v[32:33], -v[36:37]
	v_add_co_u32_e32 v28, vcc, v30, v28
	v_addc_co_u32_e32 v29, vcc, v31, v29, vcc
	global_store_dwordx4 v[28:29], v[0:3], off
	global_store_dwordx4 v[28:29], v[24:27], off offset:80
	global_store_dwordx4 v[28:29], v[20:23], off offset:160
	;; [unrolled: 1-line block ×6, first 2 shown]
	s_endpgm
	.section	.rodata,"a",@progbits
	.p2align	6, 0x0
	.amdhsa_kernel fft_rtc_back_len35_factors_5_7_wgs_252_tpt_7_dp_ip_CI_unitstride_sbrr_dirReg
		.amdhsa_group_segment_fixed_size 0
		.amdhsa_private_segment_fixed_size 0
		.amdhsa_kernarg_size 88
		.amdhsa_user_sgpr_count 6
		.amdhsa_user_sgpr_private_segment_buffer 1
		.amdhsa_user_sgpr_dispatch_ptr 0
		.amdhsa_user_sgpr_queue_ptr 0
		.amdhsa_user_sgpr_kernarg_segment_ptr 1
		.amdhsa_user_sgpr_dispatch_id 0
		.amdhsa_user_sgpr_flat_scratch_init 0
		.amdhsa_user_sgpr_private_segment_size 0
		.amdhsa_uses_dynamic_stack 0
		.amdhsa_system_sgpr_private_segment_wavefront_offset 0
		.amdhsa_system_sgpr_workgroup_id_x 1
		.amdhsa_system_sgpr_workgroup_id_y 0
		.amdhsa_system_sgpr_workgroup_id_z 0
		.amdhsa_system_sgpr_workgroup_info 0
		.amdhsa_system_vgpr_workitem_id 0
		.amdhsa_next_free_vgpr 58
		.amdhsa_next_free_sgpr 22
		.amdhsa_reserve_vcc 1
		.amdhsa_reserve_flat_scratch 0
		.amdhsa_float_round_mode_32 0
		.amdhsa_float_round_mode_16_64 0
		.amdhsa_float_denorm_mode_32 3
		.amdhsa_float_denorm_mode_16_64 3
		.amdhsa_dx10_clamp 1
		.amdhsa_ieee_mode 1
		.amdhsa_fp16_overflow 0
		.amdhsa_exception_fp_ieee_invalid_op 0
		.amdhsa_exception_fp_denorm_src 0
		.amdhsa_exception_fp_ieee_div_zero 0
		.amdhsa_exception_fp_ieee_overflow 0
		.amdhsa_exception_fp_ieee_underflow 0
		.amdhsa_exception_fp_ieee_inexact 0
		.amdhsa_exception_int_div_zero 0
	.end_amdhsa_kernel
	.text
.Lfunc_end0:
	.size	fft_rtc_back_len35_factors_5_7_wgs_252_tpt_7_dp_ip_CI_unitstride_sbrr_dirReg, .Lfunc_end0-fft_rtc_back_len35_factors_5_7_wgs_252_tpt_7_dp_ip_CI_unitstride_sbrr_dirReg
                                        ; -- End function
	.section	.AMDGPU.csdata,"",@progbits
; Kernel info:
; codeLenInByte = 3148
; NumSgprs: 26
; NumVgprs: 58
; ScratchSize: 0
; MemoryBound: 1
; FloatMode: 240
; IeeeMode: 1
; LDSByteSize: 0 bytes/workgroup (compile time only)
; SGPRBlocks: 3
; VGPRBlocks: 14
; NumSGPRsForWavesPerEU: 26
; NumVGPRsForWavesPerEU: 58
; Occupancy: 4
; WaveLimiterHint : 1
; COMPUTE_PGM_RSRC2:SCRATCH_EN: 0
; COMPUTE_PGM_RSRC2:USER_SGPR: 6
; COMPUTE_PGM_RSRC2:TRAP_HANDLER: 0
; COMPUTE_PGM_RSRC2:TGID_X_EN: 1
; COMPUTE_PGM_RSRC2:TGID_Y_EN: 0
; COMPUTE_PGM_RSRC2:TGID_Z_EN: 0
; COMPUTE_PGM_RSRC2:TIDIG_COMP_CNT: 0
	.type	__hip_cuid_5242b48d1ef86229,@object ; @__hip_cuid_5242b48d1ef86229
	.section	.bss,"aw",@nobits
	.globl	__hip_cuid_5242b48d1ef86229
__hip_cuid_5242b48d1ef86229:
	.byte	0                               ; 0x0
	.size	__hip_cuid_5242b48d1ef86229, 1

	.ident	"AMD clang version 19.0.0git (https://github.com/RadeonOpenCompute/llvm-project roc-6.4.0 25133 c7fe45cf4b819c5991fe208aaa96edf142730f1d)"
	.section	".note.GNU-stack","",@progbits
	.addrsig
	.addrsig_sym __hip_cuid_5242b48d1ef86229
	.amdgpu_metadata
---
amdhsa.kernels:
  - .args:
      - .actual_access:  read_only
        .address_space:  global
        .offset:         0
        .size:           8
        .value_kind:     global_buffer
      - .offset:         8
        .size:           8
        .value_kind:     by_value
      - .actual_access:  read_only
        .address_space:  global
        .offset:         16
        .size:           8
        .value_kind:     global_buffer
      - .actual_access:  read_only
        .address_space:  global
        .offset:         24
        .size:           8
        .value_kind:     global_buffer
      - .offset:         32
        .size:           8
        .value_kind:     by_value
      - .actual_access:  read_only
        .address_space:  global
        .offset:         40
        .size:           8
        .value_kind:     global_buffer
      - .actual_access:  read_only
        .address_space:  global
        .offset:         48
        .size:           8
        .value_kind:     global_buffer
      - .offset:         56
        .size:           4
        .value_kind:     by_value
      - .actual_access:  read_only
        .address_space:  global
        .offset:         64
        .size:           8
        .value_kind:     global_buffer
      - .actual_access:  read_only
        .address_space:  global
        .offset:         72
        .size:           8
        .value_kind:     global_buffer
      - .address_space:  global
        .offset:         80
        .size:           8
        .value_kind:     global_buffer
    .group_segment_fixed_size: 0
    .kernarg_segment_align: 8
    .kernarg_segment_size: 88
    .language:       OpenCL C
    .language_version:
      - 2
      - 0
    .max_flat_workgroup_size: 252
    .name:           fft_rtc_back_len35_factors_5_7_wgs_252_tpt_7_dp_ip_CI_unitstride_sbrr_dirReg
    .private_segment_fixed_size: 0
    .sgpr_count:     26
    .sgpr_spill_count: 0
    .symbol:         fft_rtc_back_len35_factors_5_7_wgs_252_tpt_7_dp_ip_CI_unitstride_sbrr_dirReg.kd
    .uniform_work_group_size: 1
    .uses_dynamic_stack: false
    .vgpr_count:     58
    .vgpr_spill_count: 0
    .wavefront_size: 64
amdhsa.target:   amdgcn-amd-amdhsa--gfx906
amdhsa.version:
  - 1
  - 2
...

	.end_amdgpu_metadata
